;; amdgpu-corpus repo=ROCm/rocFFT kind=compiled arch=gfx950 opt=O3
	.text
	.amdgcn_target "amdgcn-amd-amdhsa--gfx950"
	.amdhsa_code_object_version 6
	.protected	fft_rtc_fwd_len48_factors_4_3_4_wgs_64_tpt_16_halfLds_dp_op_CI_CI_unitstride_sbrr_C2R_dirReg ; -- Begin function fft_rtc_fwd_len48_factors_4_3_4_wgs_64_tpt_16_halfLds_dp_op_CI_CI_unitstride_sbrr_C2R_dirReg
	.globl	fft_rtc_fwd_len48_factors_4_3_4_wgs_64_tpt_16_halfLds_dp_op_CI_CI_unitstride_sbrr_C2R_dirReg
	.p2align	8
	.type	fft_rtc_fwd_len48_factors_4_3_4_wgs_64_tpt_16_halfLds_dp_op_CI_CI_unitstride_sbrr_C2R_dirReg,@function
fft_rtc_fwd_len48_factors_4_3_4_wgs_64_tpt_16_halfLds_dp_op_CI_CI_unitstride_sbrr_C2R_dirReg: ; @fft_rtc_fwd_len48_factors_4_3_4_wgs_64_tpt_16_halfLds_dp_op_CI_CI_unitstride_sbrr_C2R_dirReg
; %bb.0:
	s_load_dwordx4 s[4:7], s[0:1], 0x58
	s_load_dwordx4 s[8:11], s[0:1], 0x0
	;; [unrolled: 1-line block ×3, first 2 shown]
	v_lshrrev_b32_e32 v1, 4, v0
	v_lshl_or_b32 v6, s2, 2, v1
	v_mov_b32_e32 v4, 0
	s_waitcnt lgkmcnt(0)
	v_cmp_lt_u64_e64 s[2:3], s[10:11], 2
	v_mov_b32_e32 v7, v4
	s_and_b64 vcc, exec, s[2:3]
	v_mov_b64_e32 v[2:3], 0
	s_cbranch_vccnz .LBB0_8
; %bb.1:
	s_load_dwordx2 s[2:3], s[0:1], 0x10
	s_add_u32 s16, s14, 8
	s_addc_u32 s17, s15, 0
	s_add_u32 s18, s12, 8
	s_addc_u32 s19, s13, 0
	s_waitcnt lgkmcnt(0)
	s_add_u32 s20, s2, 8
	v_mov_b64_e32 v[2:3], 0
	s_addc_u32 s21, s3, 0
	s_mov_b64 s[22:23], 1
	v_mov_b64_e32 v[18:19], v[2:3]
.LBB0_2:                                ; =>This Inner Loop Header: Depth=1
	s_load_dwordx2 s[24:25], s[20:21], 0x0
                                        ; implicit-def: $vgpr20_vgpr21
	s_waitcnt lgkmcnt(0)
	v_or_b32_e32 v5, s25, v7
	v_cmp_ne_u64_e32 vcc, 0, v[4:5]
	s_and_saveexec_b64 s[2:3], vcc
	s_xor_b64 s[26:27], exec, s[2:3]
	s_cbranch_execz .LBB0_4
; %bb.3:                                ;   in Loop: Header=BB0_2 Depth=1
	v_cvt_f32_u32_e32 v5, s24
	v_cvt_f32_u32_e32 v8, s25
	s_sub_u32 s2, 0, s24
	s_subb_u32 s3, 0, s25
	v_fmac_f32_e32 v5, 0x4f800000, v8
	v_rcp_f32_e32 v5, v5
	s_nop 0
	v_mul_f32_e32 v5, 0x5f7ffffc, v5
	v_mul_f32_e32 v8, 0x2f800000, v5
	v_trunc_f32_e32 v8, v8
	v_fmac_f32_e32 v5, 0xcf800000, v8
	v_cvt_u32_f32_e32 v12, v8
	v_cvt_u32_f32_e32 v5, v5
	v_mul_lo_u32 v8, s2, v12
	v_mul_hi_u32 v10, s2, v5
	v_mul_lo_u32 v9, s3, v5
	v_add_u32_e32 v10, v10, v8
	v_mul_lo_u32 v13, s2, v5
	v_add_u32_e32 v14, v10, v9
	v_mul_hi_u32 v8, v5, v13
	v_mul_hi_u32 v11, v5, v14
	v_mul_lo_u32 v10, v5, v14
	v_mov_b32_e32 v9, v4
	v_lshl_add_u64 v[8:9], v[8:9], 0, v[10:11]
	v_mul_hi_u32 v11, v12, v13
	v_mul_lo_u32 v13, v12, v13
	v_add_co_u32_e32 v8, vcc, v8, v13
	v_mul_hi_u32 v10, v12, v14
	s_nop 0
	v_addc_co_u32_e32 v8, vcc, v9, v11, vcc
	v_mov_b32_e32 v9, v4
	s_nop 0
	v_addc_co_u32_e32 v11, vcc, 0, v10, vcc
	v_mul_lo_u32 v10, v12, v14
	v_lshl_add_u64 v[8:9], v[8:9], 0, v[10:11]
	v_add_co_u32_e32 v5, vcc, v5, v8
	v_mul_lo_u32 v10, s2, v5
	s_nop 0
	v_addc_co_u32_e32 v12, vcc, v12, v9, vcc
	v_mul_lo_u32 v8, s2, v12
	v_mul_hi_u32 v9, s2, v5
	v_add_u32_e32 v8, v9, v8
	v_mul_lo_u32 v9, s3, v5
	v_add_u32_e32 v13, v8, v9
	v_mul_hi_u32 v15, v12, v10
	v_mul_lo_u32 v16, v12, v10
	v_mul_hi_u32 v9, v5, v13
	v_mul_lo_u32 v8, v5, v13
	v_mul_hi_u32 v10, v5, v10
	v_mov_b32_e32 v11, v4
	v_lshl_add_u64 v[8:9], v[10:11], 0, v[8:9]
	v_add_co_u32_e32 v8, vcc, v8, v16
	v_mul_hi_u32 v14, v12, v13
	s_nop 0
	v_addc_co_u32_e32 v8, vcc, v9, v15, vcc
	v_mul_lo_u32 v10, v12, v13
	s_nop 0
	v_addc_co_u32_e32 v11, vcc, 0, v14, vcc
	v_mov_b32_e32 v9, v4
	v_lshl_add_u64 v[8:9], v[8:9], 0, v[10:11]
	v_add_co_u32_e32 v5, vcc, v5, v8
	v_mul_hi_u32 v10, v6, v5
	s_nop 0
	v_addc_co_u32_e32 v12, vcc, v12, v9, vcc
	v_mad_u64_u32 v[8:9], s[2:3], v6, v12, 0
	v_mov_b32_e32 v11, v4
	v_lshl_add_u64 v[8:9], v[10:11], 0, v[8:9]
	v_mad_u64_u32 v[10:11], s[2:3], v7, v12, 0
	v_mad_u64_u32 v[12:13], s[2:3], v7, v5, 0
	v_add_co_u32_e32 v5, vcc, v8, v12
	s_nop 1
	v_addc_co_u32_e32 v8, vcc, v9, v13, vcc
	v_mov_b32_e32 v9, v4
	s_nop 0
	v_addc_co_u32_e32 v11, vcc, 0, v11, vcc
	v_lshl_add_u64 v[8:9], v[8:9], 0, v[10:11]
	v_mul_lo_u32 v5, s25, v8
	v_mul_lo_u32 v12, s24, v9
	v_mad_u64_u32 v[10:11], s[2:3], s24, v8, 0
	v_add3_u32 v5, v11, v12, v5
	v_sub_u32_e32 v11, v7, v5
	v_mov_b32_e32 v12, s25
	v_sub_co_u32_e32 v14, vcc, v6, v10
	s_nop 1
	v_subb_co_u32_e64 v10, s[2:3], v11, v12, vcc
	v_subrev_co_u32_e64 v11, s[2:3], s24, v14
	v_subb_co_u32_e32 v5, vcc, v7, v5, vcc
	s_nop 0
	v_subbrev_co_u32_e64 v10, s[2:3], 0, v10, s[2:3]
	v_cmp_le_u32_e64 s[2:3], s25, v10
	v_cmp_le_u32_e32 vcc, s25, v5
	s_nop 0
	v_cndmask_b32_e64 v12, 0, -1, s[2:3]
	v_cmp_le_u32_e64 s[2:3], s24, v11
	s_nop 1
	v_cndmask_b32_e64 v11, 0, -1, s[2:3]
	v_cmp_eq_u32_e64 s[2:3], s25, v10
	s_nop 1
	v_cndmask_b32_e64 v15, v12, v11, s[2:3]
	v_lshl_add_u64 v[10:11], v[8:9], 0, 2
	v_lshl_add_u64 v[12:13], v[8:9], 0, 1
	v_cmp_ne_u32_e64 s[2:3], 0, v15
	s_nop 1
	v_cndmask_b32_e64 v11, v13, v11, s[2:3]
	v_cndmask_b32_e64 v13, 0, -1, vcc
	v_cmp_le_u32_e32 vcc, s24, v14
	s_nop 1
	v_cndmask_b32_e64 v14, 0, -1, vcc
	v_cmp_eq_u32_e32 vcc, s25, v5
	s_nop 1
	v_cndmask_b32_e32 v5, v13, v14, vcc
	v_cmp_ne_u32_e32 vcc, 0, v5
	v_cndmask_b32_e64 v5, v12, v10, s[2:3]
	s_nop 0
	v_cndmask_b32_e32 v21, v9, v11, vcc
	v_cndmask_b32_e32 v20, v8, v5, vcc
.LBB0_4:                                ;   in Loop: Header=BB0_2 Depth=1
	s_andn2_saveexec_b64 s[2:3], s[26:27]
	s_cbranch_execz .LBB0_6
; %bb.5:                                ;   in Loop: Header=BB0_2 Depth=1
	v_cvt_f32_u32_e32 v5, s24
	s_sub_i32 s26, 0, s24
	v_mov_b32_e32 v21, v4
	v_rcp_iflag_f32_e32 v5, v5
	s_nop 0
	v_mul_f32_e32 v5, 0x4f7ffffe, v5
	v_cvt_u32_f32_e32 v5, v5
	v_mul_lo_u32 v8, s26, v5
	v_mul_hi_u32 v8, v5, v8
	v_add_u32_e32 v5, v5, v8
	v_mul_hi_u32 v5, v6, v5
	v_mul_lo_u32 v8, v5, s24
	v_sub_u32_e32 v8, v6, v8
	v_add_u32_e32 v9, 1, v5
	v_subrev_u32_e32 v10, s24, v8
	v_cmp_le_u32_e32 vcc, s24, v8
	s_nop 1
	v_cndmask_b32_e32 v8, v8, v10, vcc
	v_cndmask_b32_e32 v5, v5, v9, vcc
	v_add_u32_e32 v9, 1, v5
	v_cmp_le_u32_e32 vcc, s24, v8
	s_nop 1
	v_cndmask_b32_e32 v20, v5, v9, vcc
.LBB0_6:                                ;   in Loop: Header=BB0_2 Depth=1
	s_or_b64 exec, exec, s[2:3]
	v_mad_u64_u32 v[8:9], s[2:3], v20, s24, 0
	s_load_dwordx2 s[2:3], s[18:19], 0x0
	v_mul_lo_u32 v5, v21, s24
	v_mul_lo_u32 v10, v20, s25
	s_load_dwordx2 s[24:25], s[16:17], 0x0
	s_add_u32 s22, s22, 1
	v_add3_u32 v5, v9, v10, v5
	v_sub_co_u32_e32 v6, vcc, v6, v8
	s_addc_u32 s23, s23, 0
	s_nop 0
	v_subb_co_u32_e32 v5, vcc, v7, v5, vcc
	s_add_u32 s16, s16, 8
	s_waitcnt lgkmcnt(0)
	v_mul_lo_u32 v7, s2, v5
	v_mul_lo_u32 v8, s3, v6
	v_mad_u64_u32 v[2:3], s[2:3], s2, v6, v[2:3]
	s_addc_u32 s17, s17, 0
	v_add3_u32 v3, v8, v3, v7
	v_mul_lo_u32 v5, s24, v5
	v_mul_lo_u32 v7, s25, v6
	v_mad_u64_u32 v[18:19], s[2:3], s24, v6, v[18:19]
	s_add_u32 s18, s18, 8
	v_add3_u32 v19, v7, v19, v5
	s_addc_u32 s19, s19, 0
	v_mov_b64_e32 v[6:7], s[10:11]
	s_add_u32 s20, s20, 8
	v_cmp_ge_u64_e32 vcc, s[22:23], v[6:7]
	s_addc_u32 s21, s21, 0
	s_cbranch_vccnz .LBB0_9
; %bb.7:                                ;   in Loop: Header=BB0_2 Depth=1
	v_mov_b64_e32 v[6:7], v[20:21]
	s_branch .LBB0_2
.LBB0_8:
	v_mov_b64_e32 v[18:19], v[2:3]
	v_mov_b64_e32 v[20:21], v[6:7]
.LBB0_9:
	s_load_dwordx2 s[0:1], s[0:1], 0x28
	s_lshl_b64 s[16:17], s[10:11], 3
	s_add_u32 s2, s14, s16
	s_addc_u32 s3, s15, s17
	v_and_b32_e32 v22, 15, v0
	s_waitcnt lgkmcnt(0)
	v_cmp_gt_u64_e32 vcc, s[0:1], v[20:21]
	v_cmp_le_u64_e64 s[0:1], s[0:1], v[20:21]
	s_and_saveexec_b64 s[10:11], s[0:1]
	s_xor_b64 s[0:1], exec, s[10:11]
; %bb.10:
	v_and_b32_e32 v22, 15, v0
                                        ; implicit-def: $vgpr2_vgpr3
; %bb.11:
	s_or_saveexec_b64 s[10:11], s[0:1]
	s_load_dwordx2 s[2:3], s[2:3], 0x0
	v_mul_u32_u24_e32 v10, 49, v1
	v_lshlrev_b32_e32 v29, 4, v10
	s_xor_b64 exec, exec, s[10:11]
	s_cbranch_execz .LBB0_15
; %bb.12:
	s_add_u32 s0, s12, s16
	s_addc_u32 s1, s13, s17
	s_load_dwordx2 s[0:1], s[0:1], 0x0
	v_lshlrev_b32_e32 v8, 4, v22
	v_mov_b32_e32 v9, 0
	s_waitcnt lgkmcnt(0)
	v_mul_lo_u32 v1, s1, v20
	v_mul_lo_u32 v6, s0, v21
	v_mad_u64_u32 v[4:5], s[0:1], s0, v20, 0
	v_add3_u32 v5, v5, v6, v1
	v_lshl_add_u64 v[4:5], v[4:5], 4, s[4:5]
	v_lshl_add_u64 v[2:3], v[2:3], 4, v[4:5]
	;; [unrolled: 1-line block ×3, first 2 shown]
	global_load_dwordx4 v[4:7], v[16:17], off
	global_load_dwordx4 v[12:15], v[16:17], off offset:256
	global_load_dwordx4 v[24:27], v[16:17], off offset:512
	v_add3_u32 v1, 0, v29, v8
	v_cmp_eq_u32_e64 s[0:1], 15, v22
	s_waitcnt vmcnt(2)
	ds_write_b128 v1, v[4:7]
	s_waitcnt vmcnt(1)
	ds_write_b128 v1, v[12:15] offset:256
	s_waitcnt vmcnt(0)
	ds_write_b128 v1, v[24:27] offset:512
	s_and_saveexec_b64 s[4:5], s[0:1]
	s_cbranch_execz .LBB0_14
; %bb.13:
	global_load_dwordx4 v[2:5], v[2:3], off offset:768
	v_mov_b32_e32 v22, 15
	s_waitcnt vmcnt(0)
	ds_write_b128 v1, v[2:5] offset:528
.LBB0_14:
	s_or_b64 exec, exec, s[4:5]
.LBB0_15:
	s_or_b64 exec, exec, s[10:11]
	v_lshl_add_u32 v1, v10, 4, 0
	v_lshlrev_b32_e32 v2, 4, v22
	v_add_u32_e32 v28, v1, v2
	s_waitcnt lgkmcnt(0)
	; wave barrier
	s_waitcnt lgkmcnt(0)
	v_sub_u32_e32 v11, v1, v2
	ds_read_b64 v[6:7], v28
	ds_read_b64 v[8:9], v11 offset:768
	v_cmp_ne_u32_e64 s[0:1], 0, v22
	s_waitcnt lgkmcnt(0)
	v_add_f64 v[2:3], v[6:7], v[8:9]
	v_add_f64 v[4:5], v[6:7], -v[8:9]
	s_and_saveexec_b64 s[4:5], s[0:1]
	s_xor_b64 s[0:1], exec, s[4:5]
	s_cbranch_execz .LBB0_17
; %bb.16:
	v_mov_b32_e32 v23, 0
	v_lshl_add_u64 v[2:3], v[22:23], 4, s[8:9]
	global_load_dwordx4 v[12:15], v[2:3], off offset:704
	ds_read_b64 v[2:3], v11 offset:776
	ds_read_b64 v[4:5], v28 offset:8
	v_add_f64 v[16:17], v[6:7], v[8:9]
	v_add_f64 v[24:25], v[6:7], -v[8:9]
	s_waitcnt lgkmcnt(0)
	v_add_f64 v[26:27], v[2:3], v[4:5]
	v_add_f64 v[2:3], v[4:5], -v[2:3]
	s_waitcnt vmcnt(0)
	v_fma_f64 v[6:7], -v[24:25], v[14:15], v[16:17]
	v_fma_f64 v[8:9], v[26:27], v[14:15], -v[2:3]
	v_fma_f64 v[30:31], v[24:25], v[14:15], v[16:17]
	v_fma_f64 v[4:5], v[26:27], v[14:15], v[2:3]
	v_fmac_f64_e32 v[6:7], v[26:27], v[12:13]
	v_fmac_f64_e32 v[8:9], v[24:25], v[12:13]
	v_fma_f64 v[2:3], -v[26:27], v[12:13], v[30:31]
	v_fmac_f64_e32 v[4:5], v[24:25], v[12:13]
	ds_write_b128 v11, v[6:9] offset:768
.LBB0_17:
	s_andn2_saveexec_b64 s[0:1], s[0:1]
	s_cbranch_execz .LBB0_19
; %bb.18:
	ds_read_b128 v[6:9], v1 offset:384
	s_waitcnt lgkmcnt(0)
	v_add_f64 v[6:7], v[6:7], v[6:7]
	v_mul_f64 v[8:9], v[8:9], -2.0
	ds_write_b128 v1, v[6:9] offset:384
.LBB0_19:
	s_or_b64 exec, exec, s[0:1]
	ds_write_b128 v28, v[2:5]
	v_or_b32_e32 v2, 16, v22
	v_cmp_gt_u32_e64 s[0:1], 24, v2
	s_and_saveexec_b64 s[4:5], s[0:1]
	s_cbranch_execz .LBB0_21
; %bb.20:
	s_add_u32 s0, s8, 0x2c0
	s_addc_u32 s1, s9, 0
	v_mov_b32_e32 v23, 0
	v_lshl_add_u64 v[2:3], v[22:23], 4, s[0:1]
	global_load_dwordx4 v[2:5], v[2:3], off offset:256
	ds_read_b128 v[6:9], v28 offset:256
	ds_read_b128 v[12:15], v11 offset:512
	s_waitcnt lgkmcnt(0)
	v_add_f64 v[16:17], v[6:7], v[12:13]
	v_add_f64 v[24:25], v[14:15], v[8:9]
	v_add_f64 v[26:27], v[6:7], -v[12:13]
	v_add_f64 v[8:9], v[8:9], -v[14:15]
	s_waitcnt vmcnt(0)
	v_fma_f64 v[30:31], v[26:27], v[4:5], v[16:17]
	v_fma_f64 v[6:7], v[24:25], v[4:5], v[8:9]
	v_fma_f64 v[12:13], -v[26:27], v[4:5], v[16:17]
	v_fma_f64 v[14:15], v[24:25], v[4:5], -v[8:9]
	v_fma_f64 v[4:5], -v[24:25], v[2:3], v[30:31]
	v_fmac_f64_e32 v[6:7], v[26:27], v[2:3]
	v_fmac_f64_e32 v[12:13], v[24:25], v[2:3]
	;; [unrolled: 1-line block ×3, first 2 shown]
	ds_write_b128 v28, v[4:7] offset:256
	ds_write_b128 v11, v[12:15] offset:512
.LBB0_21:
	s_or_b64 exec, exec, s[4:5]
	v_lshl_add_u32 v30, v22, 4, 0
	v_lshl_add_u32 v23, v10, 4, v30
	s_waitcnt lgkmcnt(0)
	; wave barrier
	s_waitcnt lgkmcnt(0)
	s_waitcnt lgkmcnt(0)
	; wave barrier
	s_waitcnt lgkmcnt(0)
	ds_read_b128 v[2:5], v23 offset:384
	ds_read_b128 v[6:9], v28
	ds_read_b128 v[10:13], v23 offset:192
	ds_read_b128 v[32:35], v23 offset:576
	v_cmp_gt_u32_e64 s[0:1], 12, v22
	s_waitcnt lgkmcnt(0)
	v_add_f64 v[14:15], v[6:7], -v[2:3]
	v_add_f64 v[24:25], v[8:9], -v[4:5]
	;; [unrolled: 1-line block ×5, first 2 shown]
	v_add_f64 v[4:5], v[24:25], v[16:17]
	; wave barrier
	s_and_saveexec_b64 s[4:5], s[0:1]
	s_cbranch_execz .LBB0_23
; %bb.22:
	v_fma_f64 v[32:33], v[14:15], 2.0, -v[2:3]
	v_fma_f64 v[14:15], v[6:7], 2.0, -v[14:15]
	;; [unrolled: 1-line block ×6, first 2 shown]
	v_add_f64 v[6:7], v[14:15], -v[6:7]
	v_add_f64 v[8:9], v[24:25], -v[8:9]
	v_fma_f64 v[10:11], v[14:15], 2.0, -v[6:7]
	v_mul_u32_u24_e32 v14, 48, v22
	v_fma_f64 v[12:13], v[24:25], 2.0, -v[8:9]
	v_add3_u32 v14, v30, v14, v29
	ds_write_b128 v14, v[10:13]
	ds_write_b128 v14, v[32:35] offset:16
	ds_write_b128 v14, v[6:9] offset:32
	;; [unrolled: 1-line block ×3, first 2 shown]
.LBB0_23:
	s_or_b64 exec, exec, s[4:5]
	v_and_b32_e32 v0, 3, v0
	v_lshlrev_b32_e32 v6, 5, v0
	s_waitcnt lgkmcnt(0)
	; wave barrier
	s_waitcnt lgkmcnt(0)
	global_load_dwordx4 v[10:13], v6, s[8:9]
	global_load_dwordx4 v[14:17], v6, s[8:9] offset:16
	ds_read_b128 v[6:9], v28
	ds_read_b128 v[24:27], v23 offset:256
	ds_read_b128 v[30:33], v23 offset:512
	v_lshrrev_b32_e32 v34, 2, v22
	v_mul_u32_u24_e32 v34, 12, v34
	v_or_b32_e32 v0, v34, v0
	s_mov_b32 s4, 0xe8584caa
	s_mov_b32 s5, 0x3febb67a
	;; [unrolled: 1-line block ×4, first 2 shown]
	v_lshlrev_b32_e32 v0, 4, v0
	v_add3_u32 v0, 0, v0, v29
	s_waitcnt lgkmcnt(0)
	; wave barrier
	s_waitcnt vmcnt(1) lgkmcnt(0)
	v_mul_f64 v[34:35], v[26:27], v[12:13]
	v_mul_f64 v[12:13], v[24:25], v[12:13]
	s_waitcnt vmcnt(0)
	v_mul_f64 v[36:37], v[32:33], v[16:17]
	v_mul_f64 v[16:17], v[30:31], v[16:17]
	v_fma_f64 v[24:25], v[24:25], v[10:11], -v[34:35]
	v_fmac_f64_e32 v[12:13], v[26:27], v[10:11]
	v_fma_f64 v[10:11], v[30:31], v[14:15], -v[36:37]
	v_fmac_f64_e32 v[16:17], v[32:33], v[14:15]
	v_add_f64 v[26:27], v[24:25], v[10:11]
	v_add_f64 v[34:35], v[12:13], v[16:17]
	;; [unrolled: 1-line block ×3, first 2 shown]
	v_add_f64 v[30:31], v[12:13], -v[16:17]
	v_add_f64 v[32:33], v[8:9], v[12:13]
	v_add_f64 v[24:25], v[24:25], -v[10:11]
	v_fmac_f64_e32 v[6:7], -0.5, v[26:27]
	v_fmac_f64_e32 v[8:9], -0.5, v[34:35]
	v_add_f64 v[10:11], v[14:15], v[10:11]
	v_add_f64 v[12:13], v[32:33], v[16:17]
	v_fma_f64 v[14:15], s[4:5], v[30:31], v[6:7]
	v_fmac_f64_e32 v[6:7], s[10:11], v[30:31]
	v_fma_f64 v[16:17], s[10:11], v[24:25], v[8:9]
	v_fmac_f64_e32 v[8:9], s[4:5], v[24:25]
	ds_write_b128 v0, v[10:13]
	ds_write_b128 v0, v[14:17] offset:64
	ds_write_b128 v0, v[6:9] offset:128
	s_waitcnt lgkmcnt(0)
	; wave barrier
	s_waitcnt lgkmcnt(0)
	s_and_saveexec_b64 s[4:5], s[0:1]
	s_cbranch_execz .LBB0_25
; %bb.24:
	ds_read_b128 v[10:13], v28
	ds_read_b128 v[14:17], v23 offset:192
	ds_read_b128 v[6:9], v23 offset:384
	;; [unrolled: 1-line block ×3, first 2 shown]
.LBB0_25:
	s_or_b64 exec, exec, s[4:5]
	s_waitcnt lgkmcnt(0)
	; wave barrier
	s_waitcnt lgkmcnt(0)
	s_and_saveexec_b64 s[4:5], s[0:1]
	s_cbranch_execz .LBB0_27
; %bb.26:
	v_add_u32_e32 v0, -12, v22
	v_cndmask_b32_e64 v0, v0, v22, s[0:1]
	v_mul_i32_i24_e32 v24, 3, v0
	v_mov_b32_e32 v25, 0
	v_lshl_add_u64 v[38:39], v[24:25], 4, s[8:9]
	global_load_dwordx4 v[24:27], v[38:39], off offset:144
	global_load_dwordx4 v[30:33], v[38:39], off offset:128
	;; [unrolled: 1-line block ×3, first 2 shown]
	s_waitcnt vmcnt(2)
	v_mul_f64 v[38:39], v[6:7], v[26:27]
	s_waitcnt vmcnt(1)
	v_mul_f64 v[40:41], v[16:17], v[32:33]
	;; [unrolled: 2-line block ×3, first 2 shown]
	v_mul_f64 v[26:27], v[8:9], v[26:27]
	v_mul_f64 v[32:33], v[14:15], v[32:33]
	;; [unrolled: 1-line block ×3, first 2 shown]
	v_fmac_f64_e32 v[38:39], v[8:9], v[24:25]
	v_fma_f64 v[8:9], v[14:15], v[30:31], -v[40:41]
	v_fma_f64 v[2:3], v[2:3], v[34:35], -v[42:43]
	;; [unrolled: 1-line block ×3, first 2 shown]
	v_fmac_f64_e32 v[32:33], v[16:17], v[30:31]
	v_fmac_f64_e32 v[36:37], v[4:5], v[34:35]
	v_add_f64 v[14:15], v[12:13], -v[38:39]
	v_add_f64 v[16:17], v[8:9], -v[2:3]
	v_add_f64 v[6:7], v[10:11], -v[6:7]
	v_add_f64 v[24:25], v[32:33], -v[36:37]
	v_add_f64 v[4:5], v[14:15], v[16:17]
	v_add_f64 v[2:3], v[6:7], -v[24:25]
	v_fma_f64 v[26:27], v[12:13], 2.0, -v[14:15]
	v_fma_f64 v[12:13], v[32:33], 2.0, -v[24:25]
	;; [unrolled: 1-line block ×6, first 2 shown]
	v_add_f64 v[12:13], v[26:27], -v[12:13]
	v_add_f64 v[10:11], v[24:25], -v[10:11]
	v_fma_f64 v[16:17], v[26:27], 2.0, -v[12:13]
	v_fma_f64 v[14:15], v[24:25], 2.0, -v[10:11]
	ds_write_b128 v23, v[6:9] offset:192
	ds_write_b128 v23, v[10:13] offset:384
	ds_write_b128 v28, v[14:17]
	ds_write_b128 v23, v[2:5] offset:576
.LBB0_27:
	s_or_b64 exec, exec, s[4:5]
	s_waitcnt lgkmcnt(0)
	; wave barrier
	s_waitcnt lgkmcnt(0)
	s_and_saveexec_b64 s[0:1], vcc
	s_cbranch_execz .LBB0_29
; %bb.28:
	v_mul_lo_u32 v0, s3, v20
	v_mul_lo_u32 v2, s2, v21
	v_mad_u64_u32 v[4:5], s[0:1], s2, v20, 0
	v_lshl_add_u32 v12, v22, 4, v1
	v_add3_u32 v5, v5, v2, v0
	ds_read_b128 v[0:3], v12
	v_lshl_add_u64 v[4:5], v[4:5], 4, s[6:7]
	v_mov_b32_e32 v23, 0
	v_lshl_add_u64 v[8:9], v[18:19], 4, v[4:5]
	ds_read_b128 v[4:7], v12 offset:256
	v_lshl_add_u64 v[10:11], v[22:23], 4, v[8:9]
	s_waitcnt lgkmcnt(1)
	global_store_dwordx4 v[10:11], v[0:3], off
	ds_read_b128 v[0:3], v12 offset:512
	v_add_u32_e32 v10, 16, v22
	v_mov_b32_e32 v11, v23
	v_lshl_add_u64 v[10:11], v[10:11], 4, v[8:9]
	v_add_u32_e32 v22, 32, v22
	s_waitcnt lgkmcnt(1)
	global_store_dwordx4 v[10:11], v[4:7], off
	s_nop 1
	v_lshl_add_u64 v[4:5], v[22:23], 4, v[8:9]
	s_waitcnt lgkmcnt(0)
	global_store_dwordx4 v[4:5], v[0:3], off
.LBB0_29:
	s_endpgm
	.section	.rodata,"a",@progbits
	.p2align	6, 0x0
	.amdhsa_kernel fft_rtc_fwd_len48_factors_4_3_4_wgs_64_tpt_16_halfLds_dp_op_CI_CI_unitstride_sbrr_C2R_dirReg
		.amdhsa_group_segment_fixed_size 0
		.amdhsa_private_segment_fixed_size 0
		.amdhsa_kernarg_size 104
		.amdhsa_user_sgpr_count 2
		.amdhsa_user_sgpr_dispatch_ptr 0
		.amdhsa_user_sgpr_queue_ptr 0
		.amdhsa_user_sgpr_kernarg_segment_ptr 1
		.amdhsa_user_sgpr_dispatch_id 0
		.amdhsa_user_sgpr_kernarg_preload_length 0
		.amdhsa_user_sgpr_kernarg_preload_offset 0
		.amdhsa_user_sgpr_private_segment_size 0
		.amdhsa_uses_dynamic_stack 0
		.amdhsa_enable_private_segment 0
		.amdhsa_system_sgpr_workgroup_id_x 1
		.amdhsa_system_sgpr_workgroup_id_y 0
		.amdhsa_system_sgpr_workgroup_id_z 0
		.amdhsa_system_sgpr_workgroup_info 0
		.amdhsa_system_vgpr_workitem_id 0
		.amdhsa_next_free_vgpr 44
		.amdhsa_next_free_sgpr 28
		.amdhsa_accum_offset 44
		.amdhsa_reserve_vcc 1
		.amdhsa_float_round_mode_32 0
		.amdhsa_float_round_mode_16_64 0
		.amdhsa_float_denorm_mode_32 3
		.amdhsa_float_denorm_mode_16_64 3
		.amdhsa_dx10_clamp 1
		.amdhsa_ieee_mode 1
		.amdhsa_fp16_overflow 0
		.amdhsa_tg_split 0
		.amdhsa_exception_fp_ieee_invalid_op 0
		.amdhsa_exception_fp_denorm_src 0
		.amdhsa_exception_fp_ieee_div_zero 0
		.amdhsa_exception_fp_ieee_overflow 0
		.amdhsa_exception_fp_ieee_underflow 0
		.amdhsa_exception_fp_ieee_inexact 0
		.amdhsa_exception_int_div_zero 0
	.end_amdhsa_kernel
	.text
.Lfunc_end0:
	.size	fft_rtc_fwd_len48_factors_4_3_4_wgs_64_tpt_16_halfLds_dp_op_CI_CI_unitstride_sbrr_C2R_dirReg, .Lfunc_end0-fft_rtc_fwd_len48_factors_4_3_4_wgs_64_tpt_16_halfLds_dp_op_CI_CI_unitstride_sbrr_C2R_dirReg
                                        ; -- End function
	.section	.AMDGPU.csdata,"",@progbits
; Kernel info:
; codeLenInByte = 3000
; NumSgprs: 34
; NumVgprs: 44
; NumAgprs: 0
; TotalNumVgprs: 44
; ScratchSize: 0
; MemoryBound: 0
; FloatMode: 240
; IeeeMode: 1
; LDSByteSize: 0 bytes/workgroup (compile time only)
; SGPRBlocks: 4
; VGPRBlocks: 5
; NumSGPRsForWavesPerEU: 34
; NumVGPRsForWavesPerEU: 44
; AccumOffset: 44
; Occupancy: 8
; WaveLimiterHint : 1
; COMPUTE_PGM_RSRC2:SCRATCH_EN: 0
; COMPUTE_PGM_RSRC2:USER_SGPR: 2
; COMPUTE_PGM_RSRC2:TRAP_HANDLER: 0
; COMPUTE_PGM_RSRC2:TGID_X_EN: 1
; COMPUTE_PGM_RSRC2:TGID_Y_EN: 0
; COMPUTE_PGM_RSRC2:TGID_Z_EN: 0
; COMPUTE_PGM_RSRC2:TIDIG_COMP_CNT: 0
; COMPUTE_PGM_RSRC3_GFX90A:ACCUM_OFFSET: 10
; COMPUTE_PGM_RSRC3_GFX90A:TG_SPLIT: 0
	.text
	.p2alignl 6, 3212836864
	.fill 256, 4, 3212836864
	.type	__hip_cuid_d6db11c2cc0222ff,@object ; @__hip_cuid_d6db11c2cc0222ff
	.section	.bss,"aw",@nobits
	.globl	__hip_cuid_d6db11c2cc0222ff
__hip_cuid_d6db11c2cc0222ff:
	.byte	0                               ; 0x0
	.size	__hip_cuid_d6db11c2cc0222ff, 1

	.ident	"AMD clang version 19.0.0git (https://github.com/RadeonOpenCompute/llvm-project roc-6.4.0 25133 c7fe45cf4b819c5991fe208aaa96edf142730f1d)"
	.section	".note.GNU-stack","",@progbits
	.addrsig
	.addrsig_sym __hip_cuid_d6db11c2cc0222ff
	.amdgpu_metadata
---
amdhsa.kernels:
  - .agpr_count:     0
    .args:
      - .actual_access:  read_only
        .address_space:  global
        .offset:         0
        .size:           8
        .value_kind:     global_buffer
      - .offset:         8
        .size:           8
        .value_kind:     by_value
      - .actual_access:  read_only
        .address_space:  global
        .offset:         16
        .size:           8
        .value_kind:     global_buffer
      - .actual_access:  read_only
        .address_space:  global
        .offset:         24
        .size:           8
        .value_kind:     global_buffer
      - .actual_access:  read_only
        .address_space:  global
        .offset:         32
        .size:           8
        .value_kind:     global_buffer
      - .offset:         40
        .size:           8
        .value_kind:     by_value
      - .actual_access:  read_only
        .address_space:  global
        .offset:         48
        .size:           8
        .value_kind:     global_buffer
      - .actual_access:  read_only
        .address_space:  global
        .offset:         56
        .size:           8
        .value_kind:     global_buffer
      - .offset:         64
        .size:           4
        .value_kind:     by_value
      - .actual_access:  read_only
        .address_space:  global
        .offset:         72
        .size:           8
        .value_kind:     global_buffer
      - .actual_access:  read_only
        .address_space:  global
        .offset:         80
        .size:           8
        .value_kind:     global_buffer
      - .actual_access:  read_only
        .address_space:  global
        .offset:         88
        .size:           8
        .value_kind:     global_buffer
      - .actual_access:  write_only
        .address_space:  global
        .offset:         96
        .size:           8
        .value_kind:     global_buffer
    .group_segment_fixed_size: 0
    .kernarg_segment_align: 8
    .kernarg_segment_size: 104
    .language:       OpenCL C
    .language_version:
      - 2
      - 0
    .max_flat_workgroup_size: 64
    .name:           fft_rtc_fwd_len48_factors_4_3_4_wgs_64_tpt_16_halfLds_dp_op_CI_CI_unitstride_sbrr_C2R_dirReg
    .private_segment_fixed_size: 0
    .sgpr_count:     34
    .sgpr_spill_count: 0
    .symbol:         fft_rtc_fwd_len48_factors_4_3_4_wgs_64_tpt_16_halfLds_dp_op_CI_CI_unitstride_sbrr_C2R_dirReg.kd
    .uniform_work_group_size: 1
    .uses_dynamic_stack: false
    .vgpr_count:     44
    .vgpr_spill_count: 0
    .wavefront_size: 64
amdhsa.target:   amdgcn-amd-amdhsa--gfx950
amdhsa.version:
  - 1
  - 2
...

	.end_amdgpu_metadata
